;; amdgpu-corpus repo=ROCm/rocFFT kind=compiled arch=gfx906 opt=O3
	.text
	.amdgcn_target "amdgcn-amd-amdhsa--gfx906"
	.amdhsa_code_object_version 6
	.protected	fft_rtc_fwd_len1372_factors_2_2_7_7_7_wgs_196_tpt_98_halfLds_dp_op_CI_CI_unitstride_sbrr_C2R_dirReg ; -- Begin function fft_rtc_fwd_len1372_factors_2_2_7_7_7_wgs_196_tpt_98_halfLds_dp_op_CI_CI_unitstride_sbrr_C2R_dirReg
	.globl	fft_rtc_fwd_len1372_factors_2_2_7_7_7_wgs_196_tpt_98_halfLds_dp_op_CI_CI_unitstride_sbrr_C2R_dirReg
	.p2align	8
	.type	fft_rtc_fwd_len1372_factors_2_2_7_7_7_wgs_196_tpt_98_halfLds_dp_op_CI_CI_unitstride_sbrr_C2R_dirReg,@function
fft_rtc_fwd_len1372_factors_2_2_7_7_7_wgs_196_tpt_98_halfLds_dp_op_CI_CI_unitstride_sbrr_C2R_dirReg: ; @fft_rtc_fwd_len1372_factors_2_2_7_7_7_wgs_196_tpt_98_halfLds_dp_op_CI_CI_unitstride_sbrr_C2R_dirReg
; %bb.0:
	s_load_dwordx4 s[8:11], s[4:5], 0x58
	s_load_dwordx4 s[12:15], s[4:5], 0x0
	;; [unrolled: 1-line block ×3, first 2 shown]
	v_mul_u32_u24_e32 v1, 0x29d, v0
	v_lshrrev_b32_e32 v7, 16, v1
	v_mov_b32_e32 v3, 0
	s_waitcnt lgkmcnt(0)
	v_cmp_lt_u64_e64 s[0:1], s[14:15], 2
	v_mov_b32_e32 v1, 0
	v_lshl_add_u32 v5, s6, 1, v7
	v_mov_b32_e32 v6, v3
	s_and_b64 vcc, exec, s[0:1]
	v_mov_b32_e32 v2, 0
	s_cbranch_vccnz .LBB0_8
; %bb.1:
	s_load_dwordx2 s[0:1], s[4:5], 0x10
	s_add_u32 s2, s18, 8
	s_addc_u32 s3, s19, 0
	s_add_u32 s6, s16, 8
	v_mov_b32_e32 v1, 0
	s_addc_u32 s7, s17, 0
	v_mov_b32_e32 v2, 0
	s_waitcnt lgkmcnt(0)
	s_add_u32 s20, s0, 8
	v_mov_b32_e32 v13, v2
	s_addc_u32 s21, s1, 0
	s_mov_b64 s[22:23], 1
	v_mov_b32_e32 v12, v1
.LBB0_2:                                ; =>This Inner Loop Header: Depth=1
	s_load_dwordx2 s[24:25], s[20:21], 0x0
                                        ; implicit-def: $vgpr16_vgpr17
	s_waitcnt lgkmcnt(0)
	v_or_b32_e32 v4, s25, v6
	v_cmp_ne_u64_e32 vcc, 0, v[3:4]
	s_and_saveexec_b64 s[0:1], vcc
	s_xor_b64 s[26:27], exec, s[0:1]
	s_cbranch_execz .LBB0_4
; %bb.3:                                ;   in Loop: Header=BB0_2 Depth=1
	v_cvt_f32_u32_e32 v4, s24
	v_cvt_f32_u32_e32 v8, s25
	s_sub_u32 s0, 0, s24
	s_subb_u32 s1, 0, s25
	v_mac_f32_e32 v4, 0x4f800000, v8
	v_rcp_f32_e32 v4, v4
	v_mul_f32_e32 v4, 0x5f7ffffc, v4
	v_mul_f32_e32 v8, 0x2f800000, v4
	v_trunc_f32_e32 v8, v8
	v_mac_f32_e32 v4, 0xcf800000, v8
	v_cvt_u32_f32_e32 v8, v8
	v_cvt_u32_f32_e32 v4, v4
	v_mul_lo_u32 v9, s0, v8
	v_mul_hi_u32 v10, s0, v4
	v_mul_lo_u32 v14, s1, v4
	v_mul_lo_u32 v11, s0, v4
	v_add_u32_e32 v9, v10, v9
	v_add_u32_e32 v9, v9, v14
	v_mul_hi_u32 v10, v4, v11
	v_mul_lo_u32 v14, v4, v9
	v_mul_hi_u32 v16, v4, v9
	v_mul_hi_u32 v15, v8, v11
	v_mul_lo_u32 v11, v8, v11
	v_mul_hi_u32 v17, v8, v9
	v_add_co_u32_e32 v10, vcc, v10, v14
	v_addc_co_u32_e32 v14, vcc, 0, v16, vcc
	v_mul_lo_u32 v9, v8, v9
	v_add_co_u32_e32 v10, vcc, v10, v11
	v_addc_co_u32_e32 v10, vcc, v14, v15, vcc
	v_addc_co_u32_e32 v11, vcc, 0, v17, vcc
	v_add_co_u32_e32 v9, vcc, v10, v9
	v_addc_co_u32_e32 v10, vcc, 0, v11, vcc
	v_add_co_u32_e32 v4, vcc, v4, v9
	v_addc_co_u32_e32 v8, vcc, v8, v10, vcc
	v_mul_lo_u32 v9, s0, v8
	v_mul_hi_u32 v10, s0, v4
	v_mul_lo_u32 v11, s1, v4
	v_mul_lo_u32 v14, s0, v4
	v_add_u32_e32 v9, v10, v9
	v_add_u32_e32 v9, v9, v11
	v_mul_lo_u32 v15, v4, v9
	v_mul_hi_u32 v16, v4, v14
	v_mul_hi_u32 v17, v4, v9
	;; [unrolled: 1-line block ×3, first 2 shown]
	v_mul_lo_u32 v14, v8, v14
	v_mul_hi_u32 v10, v8, v9
	v_add_co_u32_e32 v15, vcc, v16, v15
	v_addc_co_u32_e32 v16, vcc, 0, v17, vcc
	v_mul_lo_u32 v9, v8, v9
	v_add_co_u32_e32 v14, vcc, v15, v14
	v_addc_co_u32_e32 v11, vcc, v16, v11, vcc
	v_addc_co_u32_e32 v10, vcc, 0, v10, vcc
	v_add_co_u32_e32 v9, vcc, v11, v9
	v_addc_co_u32_e32 v10, vcc, 0, v10, vcc
	v_add_co_u32_e32 v4, vcc, v4, v9
	v_addc_co_u32_e32 v10, vcc, v8, v10, vcc
	v_mad_u64_u32 v[8:9], s[0:1], v5, v10, 0
	v_mul_hi_u32 v11, v5, v4
	v_add_co_u32_e32 v14, vcc, v11, v8
	v_addc_co_u32_e32 v15, vcc, 0, v9, vcc
	v_mad_u64_u32 v[8:9], s[0:1], v6, v4, 0
	v_mad_u64_u32 v[10:11], s[0:1], v6, v10, 0
	v_add_co_u32_e32 v4, vcc, v14, v8
	v_addc_co_u32_e32 v4, vcc, v15, v9, vcc
	v_addc_co_u32_e32 v8, vcc, 0, v11, vcc
	v_add_co_u32_e32 v4, vcc, v4, v10
	v_addc_co_u32_e32 v10, vcc, 0, v8, vcc
	v_mul_lo_u32 v11, s25, v4
	v_mul_lo_u32 v14, s24, v10
	v_mad_u64_u32 v[8:9], s[0:1], s24, v4, 0
	v_add3_u32 v9, v9, v14, v11
	v_sub_u32_e32 v11, v6, v9
	v_mov_b32_e32 v14, s25
	v_sub_co_u32_e32 v8, vcc, v5, v8
	v_subb_co_u32_e64 v11, s[0:1], v11, v14, vcc
	v_subrev_co_u32_e64 v14, s[0:1], s24, v8
	v_subbrev_co_u32_e64 v11, s[0:1], 0, v11, s[0:1]
	v_cmp_le_u32_e64 s[0:1], s25, v11
	v_cndmask_b32_e64 v15, 0, -1, s[0:1]
	v_cmp_le_u32_e64 s[0:1], s24, v14
	v_cndmask_b32_e64 v14, 0, -1, s[0:1]
	v_cmp_eq_u32_e64 s[0:1], s25, v11
	v_cndmask_b32_e64 v11, v15, v14, s[0:1]
	v_add_co_u32_e64 v14, s[0:1], 2, v4
	v_addc_co_u32_e64 v15, s[0:1], 0, v10, s[0:1]
	v_add_co_u32_e64 v16, s[0:1], 1, v4
	v_addc_co_u32_e64 v17, s[0:1], 0, v10, s[0:1]
	v_subb_co_u32_e32 v9, vcc, v6, v9, vcc
	v_cmp_ne_u32_e64 s[0:1], 0, v11
	v_cmp_le_u32_e32 vcc, s25, v9
	v_cndmask_b32_e64 v11, v17, v15, s[0:1]
	v_cndmask_b32_e64 v15, 0, -1, vcc
	v_cmp_le_u32_e32 vcc, s24, v8
	v_cndmask_b32_e64 v8, 0, -1, vcc
	v_cmp_eq_u32_e32 vcc, s25, v9
	v_cndmask_b32_e32 v8, v15, v8, vcc
	v_cmp_ne_u32_e32 vcc, 0, v8
	v_cndmask_b32_e64 v8, v16, v14, s[0:1]
	v_cndmask_b32_e32 v17, v10, v11, vcc
	v_cndmask_b32_e32 v16, v4, v8, vcc
.LBB0_4:                                ;   in Loop: Header=BB0_2 Depth=1
	s_andn2_saveexec_b64 s[0:1], s[26:27]
	s_cbranch_execz .LBB0_6
; %bb.5:                                ;   in Loop: Header=BB0_2 Depth=1
	v_cvt_f32_u32_e32 v4, s24
	s_sub_i32 s26, 0, s24
	v_mov_b32_e32 v17, v3
	v_rcp_iflag_f32_e32 v4, v4
	v_mul_f32_e32 v4, 0x4f7ffffe, v4
	v_cvt_u32_f32_e32 v4, v4
	v_mul_lo_u32 v8, s26, v4
	v_mul_hi_u32 v8, v4, v8
	v_add_u32_e32 v4, v4, v8
	v_mul_hi_u32 v4, v5, v4
	v_mul_lo_u32 v8, v4, s24
	v_add_u32_e32 v9, 1, v4
	v_sub_u32_e32 v8, v5, v8
	v_subrev_u32_e32 v10, s24, v8
	v_cmp_le_u32_e32 vcc, s24, v8
	v_cndmask_b32_e32 v8, v8, v10, vcc
	v_cndmask_b32_e32 v4, v4, v9, vcc
	v_add_u32_e32 v9, 1, v4
	v_cmp_le_u32_e32 vcc, s24, v8
	v_cndmask_b32_e32 v16, v4, v9, vcc
.LBB0_6:                                ;   in Loop: Header=BB0_2 Depth=1
	s_or_b64 exec, exec, s[0:1]
	v_mul_lo_u32 v4, v17, s24
	v_mul_lo_u32 v10, v16, s25
	v_mad_u64_u32 v[8:9], s[0:1], v16, s24, 0
	s_load_dwordx2 s[0:1], s[6:7], 0x0
	s_load_dwordx2 s[24:25], s[2:3], 0x0
	v_add3_u32 v4, v9, v10, v4
	v_sub_co_u32_e32 v5, vcc, v5, v8
	v_subb_co_u32_e32 v4, vcc, v6, v4, vcc
	s_waitcnt lgkmcnt(0)
	v_mul_lo_u32 v6, s0, v4
	v_mul_lo_u32 v8, s1, v5
	v_mad_u64_u32 v[1:2], s[0:1], s0, v5, v[1:2]
	v_mul_lo_u32 v4, s24, v4
	v_mul_lo_u32 v9, s25, v5
	v_mad_u64_u32 v[12:13], s[0:1], s24, v5, v[12:13]
	s_add_u32 s22, s22, 1
	s_addc_u32 s23, s23, 0
	s_add_u32 s2, s2, 8
	v_add3_u32 v13, v9, v13, v4
	s_addc_u32 s3, s3, 0
	v_mov_b32_e32 v4, s14
	s_add_u32 s6, s6, 8
	v_mov_b32_e32 v5, s15
	s_addc_u32 s7, s7, 0
	v_cmp_ge_u64_e32 vcc, s[22:23], v[4:5]
	s_add_u32 s20, s20, 8
	v_add3_u32 v2, v8, v2, v6
	s_addc_u32 s21, s21, 0
	s_cbranch_vccnz .LBB0_9
; %bb.7:                                ;   in Loop: Header=BB0_2 Depth=1
	v_mov_b32_e32 v5, v16
	v_mov_b32_e32 v6, v17
	s_branch .LBB0_2
.LBB0_8:
	v_mov_b32_e32 v13, v2
	v_mov_b32_e32 v17, v6
	;; [unrolled: 1-line block ×4, first 2 shown]
.LBB0_9:
	s_load_dwordx2 s[2:3], s[4:5], 0x28
	s_lshl_b64 s[6:7], s[14:15], 3
	s_add_u32 s14, s18, s6
	v_and_b32_e32 v3, 1, v7
	s_addc_u32 s15, s19, s7
	s_waitcnt lgkmcnt(0)
	v_cmp_gt_u64_e64 s[0:1], s[2:3], v[16:17]
	v_cmp_le_u64_e64 s[2:3], s[2:3], v[16:17]
	v_cmp_eq_u32_e32 vcc, 1, v3
	v_mov_b32_e32 v3, 0x55d
                                        ; implicit-def: $vgpr14
	s_and_saveexec_b64 s[4:5], s[2:3]
	s_xor_b64 s[2:3], exec, s[4:5]
; %bb.10:
	s_mov_b32 s4, 0x29cbc15
	v_mul_hi_u32 v1, v0, s4
	v_mul_u32_u24_e32 v1, 0x62, v1
	v_sub_u32_e32 v14, v0, v1
                                        ; implicit-def: $vgpr0
                                        ; implicit-def: $vgpr1_vgpr2
; %bb.11:
	s_or_saveexec_b64 s[4:5], s[2:3]
	s_load_dwordx2 s[2:3], s[14:15], 0x0
	v_cndmask_b32_e32 v3, 0, v3, vcc
	v_lshlrev_b32_e32 v44, 4, v3
	s_xor_b64 exec, exec, s[4:5]
	s_cbranch_execz .LBB0_15
; %bb.12:
	s_add_u32 s6, s16, s6
	s_addc_u32 s7, s17, s7
	s_load_dwordx2 s[6:7], s[6:7], 0x0
	s_mov_b32 s14, 0x29cbc15
	v_mul_hi_u32 v6, v0, s14
	v_lshlrev_b64 v[1:2], 4, v[1:2]
	s_waitcnt lgkmcnt(0)
	v_mul_lo_u32 v7, s7, v16
	v_mul_lo_u32 v8, s6, v17
	v_mad_u64_u32 v[4:5], s[6:7], s6, v16, 0
	v_mul_u32_u24_e32 v6, 0x62, v6
	v_sub_u32_e32 v14, v0, v6
	v_add3_u32 v5, v5, v8, v7
	v_lshlrev_b64 v[4:5], 4, v[4:5]
	v_mov_b32_e32 v0, s9
	v_add_co_u32_e32 v4, vcc, s8, v4
	v_addc_co_u32_e32 v0, vcc, v0, v5, vcc
	v_add_co_u32_e32 v1, vcc, v4, v1
	v_addc_co_u32_e32 v0, vcc, v0, v2, vcc
	v_lshlrev_b32_e32 v2, 4, v14
	v_add_co_u32_e32 v42, vcc, v1, v2
	v_addc_co_u32_e32 v43, vcc, 0, v0, vcc
	s_movk_i32 s6, 0x1000
	v_add_co_u32_e32 v34, vcc, s6, v42
	v_addc_co_u32_e32 v35, vcc, 0, v43, vcc
	s_movk_i32 s6, 0x2000
	;; [unrolled: 3-line block ×3, first 2 shown]
	v_add_co_u32_e32 v69, vcc, s6, v42
	v_addc_co_u32_e32 v70, vcc, 0, v43, vcc
	global_load_dwordx4 v[4:7], v[42:43], off
	global_load_dwordx4 v[8:11], v[42:43], off offset:1568
	global_load_dwordx4 v[18:21], v[42:43], off offset:3136
	;; [unrolled: 1-line block ×5, first 2 shown]
	v_add_co_u32_e32 v42, vcc, 0x4000, v42
	global_load_dwordx4 v[34:37], v[45:46], off offset:1216
	global_load_dwordx4 v[38:41], v[45:46], off offset:2784
	s_nop 0
	global_load_dwordx4 v[45:48], v[69:70], off offset:256
	global_load_dwordx4 v[49:52], v[69:70], off offset:1824
	v_addc_co_u32_e32 v43, vcc, 0, v43, vcc
	global_load_dwordx4 v[53:56], v[69:70], off offset:3392
	global_load_dwordx4 v[57:60], v[42:43], off offset:864
	;; [unrolled: 1-line block ×4, first 2 shown]
	s_movk_i32 s6, 0x61
	v_add3_u32 v2, 0, v44, v2
	v_cmp_eq_u32_e32 vcc, s6, v14
	s_waitcnt vmcnt(13)
	ds_write_b128 v2, v[4:7]
	s_waitcnt vmcnt(12)
	ds_write_b128 v2, v[8:11] offset:1568
	s_waitcnt vmcnt(11)
	ds_write_b128 v2, v[18:21] offset:3136
	;; [unrolled: 2-line block ×13, first 2 shown]
	s_and_saveexec_b64 s[6:7], vcc
	s_cbranch_execz .LBB0_14
; %bb.13:
	v_add_co_u32_e32 v4, vcc, 0x5000, v1
	v_addc_co_u32_e32 v5, vcc, 0, v0, vcc
	global_load_dwordx4 v[4:7], v[4:5], off offset:1472
	v_mov_b32_e32 v14, 0x61
	s_waitcnt vmcnt(0)
	ds_write_b128 v2, v[4:7] offset:20400
.LBB0_14:
	s_or_b64 exec, exec, s[6:7]
.LBB0_15:
	s_or_b64 exec, exec, s[4:5]
	v_lshl_add_u32 v42, v3, 4, 0
	v_lshlrev_b32_e32 v10, 4, v14
	v_add_u32_e32 v43, v42, v10
	s_waitcnt lgkmcnt(0)
	s_barrier
	v_sub_u32_e32 v11, v42, v10
	ds_read_b64 v[6:7], v43
	ds_read_b64 v[8:9], v11 offset:21952
	s_add_u32 s6, s12, 0x55a0
	s_addc_u32 s7, s13, 0
	v_cmp_ne_u32_e32 vcc, 0, v14
                                        ; implicit-def: $vgpr4_vgpr5
	s_waitcnt lgkmcnt(0)
	v_add_f64 v[0:1], v[6:7], v[8:9]
	v_add_f64 v[2:3], v[6:7], -v[8:9]
	s_and_saveexec_b64 s[4:5], vcc
	s_xor_b64 s[4:5], exec, s[4:5]
	s_cbranch_execz .LBB0_17
; %bb.16:
	v_mov_b32_e32 v15, 0
	v_lshlrev_b64 v[0:1], 4, v[14:15]
	v_mov_b32_e32 v2, s7
	v_add_co_u32_e32 v0, vcc, s6, v0
	v_addc_co_u32_e32 v1, vcc, v2, v1, vcc
	global_load_dwordx4 v[2:5], v[0:1], off
	ds_read_b64 v[0:1], v11 offset:21960
	ds_read_b64 v[18:19], v43 offset:8
	v_add_f64 v[20:21], v[6:7], v[8:9]
	v_add_f64 v[8:9], v[6:7], -v[8:9]
	s_waitcnt lgkmcnt(0)
	v_add_f64 v[22:23], v[0:1], v[18:19]
	v_add_f64 v[0:1], v[18:19], -v[0:1]
	s_waitcnt vmcnt(0)
	v_fma_f64 v[6:7], -v[8:9], v[4:5], v[20:21]
	v_fma_f64 v[18:19], v[22:23], v[4:5], -v[0:1]
	v_fma_f64 v[20:21], v[8:9], v[4:5], v[20:21]
	v_fma_f64 v[24:25], v[22:23], v[4:5], v[0:1]
	;; [unrolled: 1-line block ×4, first 2 shown]
	v_fma_f64 v[0:1], -v[22:23], v[2:3], v[20:21]
	v_fma_f64 v[2:3], v[8:9], v[2:3], v[24:25]
	ds_write_b128 v11, v[4:7] offset:21952
	v_mov_b32_e32 v4, v14
	v_mov_b32_e32 v5, v15
.LBB0_17:
	s_andn2_saveexec_b64 s[4:5], s[4:5]
	s_cbranch_execz .LBB0_19
; %bb.18:
	ds_read_b128 v[4:7], v42 offset:10976
	s_waitcnt lgkmcnt(0)
	v_add_f64 v[18:19], v[4:5], v[4:5]
	v_mul_f64 v[20:21], v[6:7], -2.0
	v_mov_b32_e32 v4, 0
	v_mov_b32_e32 v5, 0
	ds_write_b128 v42, v[18:21] offset:10976
.LBB0_19:
	s_or_b64 exec, exec, s[4:5]
	v_lshlrev_b64 v[4:5], 4, v[4:5]
	v_mov_b32_e32 v6, s7
	v_add_co_u32_e32 v30, vcc, s6, v4
	v_addc_co_u32_e32 v31, vcc, v6, v5, vcc
	global_load_dwordx4 v[4:7], v[30:31], off offset:1568
	global_load_dwordx4 v[18:21], v[30:31], off offset:3136
	s_movk_i32 s4, 0x1000
	v_add_co_u32_e32 v32, vcc, s4, v30
	v_addc_co_u32_e32 v33, vcc, 0, v31, vcc
	global_load_dwordx4 v[26:29], v[32:33], off offset:608
	ds_write_b128 v43, v[0:3]
	ds_read_b128 v[0:3], v43 offset:1568
	ds_read_b128 v[22:25], v11 offset:20384
	s_movk_i32 s4, 0x2000
	v_add3_u32 v15, 0, v10, v44
	v_add_u32_e32 v45, 0x62, v14
	v_add_u32_e32 v10, v15, v10
	s_waitcnt lgkmcnt(0)
	v_add_f64 v[8:9], v[0:1], v[22:23]
	v_add_f64 v[34:35], v[24:25], v[2:3]
	v_add_f64 v[22:23], v[0:1], -v[22:23]
	v_add_f64 v[0:1], v[2:3], -v[24:25]
	s_movk_i32 s5, 0x1fc
	s_movk_i32 s6, 0x3fc
	s_movk_i32 s7, 0x7fc
	s_movk_i32 s8, 0x5fc
	s_mov_b32 s24, 0xb247c609
	s_mov_b32 s25, 0x3fd5d0dc
	;; [unrolled: 1-line block ×14, first 2 shown]
	s_movk_i32 s28, 0xc40
	s_waitcnt vmcnt(2)
	v_fma_f64 v[2:3], v[22:23], v[6:7], v[8:9]
	v_fma_f64 v[24:25], v[34:35], v[6:7], v[0:1]
	v_fma_f64 v[8:9], -v[22:23], v[6:7], v[8:9]
	v_fma_f64 v[36:37], v[34:35], v[6:7], -v[0:1]
	v_fma_f64 v[0:1], -v[34:35], v[4:5], v[2:3]
	v_fma_f64 v[2:3], v[22:23], v[4:5], v[24:25]
	v_fma_f64 v[6:7], v[34:35], v[4:5], v[8:9]
	;; [unrolled: 1-line block ×3, first 2 shown]
	ds_write_b128 v43, v[0:3] offset:1568
	ds_write_b128 v11, v[6:9] offset:20384
	ds_read_b128 v[0:3], v43 offset:3136
	ds_read_b128 v[4:7], v11 offset:18816
	global_load_dwordx4 v[22:25], v[32:33], off offset:2176
	s_waitcnt lgkmcnt(0)
	v_add_f64 v[8:9], v[0:1], v[4:5]
	v_add_f64 v[34:35], v[6:7], v[2:3]
	v_add_f64 v[36:37], v[0:1], -v[4:5]
	v_add_f64 v[0:1], v[2:3], -v[6:7]
	s_waitcnt vmcnt(2)
	v_fma_f64 v[2:3], v[36:37], v[20:21], v[8:9]
	v_fma_f64 v[4:5], v[34:35], v[20:21], v[0:1]
	v_fma_f64 v[6:7], -v[36:37], v[20:21], v[8:9]
	v_fma_f64 v[8:9], v[34:35], v[20:21], -v[0:1]
	v_fma_f64 v[0:1], -v[34:35], v[18:19], v[2:3]
	v_fma_f64 v[2:3], v[36:37], v[18:19], v[4:5]
	v_fma_f64 v[4:5], v[34:35], v[18:19], v[6:7]
	;; [unrolled: 1-line block ×3, first 2 shown]
	ds_write_b128 v43, v[0:3] offset:3136
	ds_write_b128 v11, v[4:7] offset:18816
	ds_read_b128 v[0:3], v43 offset:4704
	ds_read_b128 v[4:7], v11 offset:17248
	global_load_dwordx4 v[18:21], v[32:33], off offset:3744
	s_waitcnt lgkmcnt(0)
	v_add_f64 v[8:9], v[0:1], v[4:5]
	v_add_f64 v[32:33], v[6:7], v[2:3]
	v_add_f64 v[34:35], v[0:1], -v[4:5]
	v_add_f64 v[0:1], v[2:3], -v[6:7]
	s_waitcnt vmcnt(2)
	v_fma_f64 v[2:3], v[34:35], v[28:29], v[8:9]
	v_fma_f64 v[4:5], v[32:33], v[28:29], v[0:1]
	v_fma_f64 v[6:7], -v[34:35], v[28:29], v[8:9]
	v_fma_f64 v[8:9], v[32:33], v[28:29], -v[0:1]
	v_fma_f64 v[0:1], -v[32:33], v[26:27], v[2:3]
	v_fma_f64 v[2:3], v[34:35], v[26:27], v[4:5]
	v_fma_f64 v[4:5], v[32:33], v[26:27], v[6:7]
	;; [unrolled: 1-line block ×3, first 2 shown]
	v_add_co_u32_e32 v8, vcc, s4, v30
	ds_write_b128 v43, v[0:3] offset:4704
	ds_write_b128 v11, v[4:7] offset:17248
	v_addc_co_u32_e32 v9, vcc, 0, v31, vcc
	ds_read_b128 v[0:3], v43 offset:6272
	ds_read_b128 v[4:7], v11 offset:15680
	global_load_dwordx4 v[26:29], v[8:9], off offset:1216
	s_movk_i32 s4, 0xfc
	s_waitcnt lgkmcnt(0)
	v_add_f64 v[8:9], v[0:1], v[4:5]
	v_add_f64 v[30:31], v[6:7], v[2:3]
	v_add_f64 v[32:33], v[0:1], -v[4:5]
	v_add_f64 v[0:1], v[2:3], -v[6:7]
	s_waitcnt vmcnt(2)
	v_fma_f64 v[2:3], v[32:33], v[24:25], v[8:9]
	v_fma_f64 v[4:5], v[30:31], v[24:25], v[0:1]
	v_fma_f64 v[6:7], -v[32:33], v[24:25], v[8:9]
	v_fma_f64 v[8:9], v[30:31], v[24:25], -v[0:1]
	v_fma_f64 v[0:1], -v[30:31], v[22:23], v[2:3]
	v_fma_f64 v[2:3], v[32:33], v[22:23], v[4:5]
	v_fma_f64 v[4:5], v[30:31], v[22:23], v[6:7]
	;; [unrolled: 1-line block ×3, first 2 shown]
	ds_write_b128 v43, v[0:3] offset:6272
	ds_write_b128 v11, v[4:7] offset:15680
	ds_read_b128 v[0:3], v43 offset:7840
	ds_read_b128 v[4:7], v11 offset:14112
	s_waitcnt lgkmcnt(0)
	v_add_f64 v[8:9], v[0:1], v[4:5]
	v_add_f64 v[22:23], v[6:7], v[2:3]
	v_add_f64 v[24:25], v[0:1], -v[4:5]
	v_add_f64 v[0:1], v[2:3], -v[6:7]
	s_waitcnt vmcnt(1)
	v_fma_f64 v[2:3], v[24:25], v[20:21], v[8:9]
	v_fma_f64 v[4:5], v[22:23], v[20:21], v[0:1]
	v_fma_f64 v[6:7], -v[24:25], v[20:21], v[8:9]
	v_fma_f64 v[8:9], v[22:23], v[20:21], -v[0:1]
	v_fma_f64 v[0:1], -v[22:23], v[18:19], v[2:3]
	v_fma_f64 v[2:3], v[24:25], v[18:19], v[4:5]
	v_fma_f64 v[4:5], v[22:23], v[18:19], v[6:7]
	;; [unrolled: 1-line block ×3, first 2 shown]
	ds_write_b128 v43, v[0:3] offset:7840
	ds_write_b128 v11, v[4:7] offset:14112
	ds_read_b128 v[0:3], v43 offset:9408
	ds_read_b128 v[4:7], v11 offset:12544
	s_waitcnt lgkmcnt(0)
	v_add_f64 v[8:9], v[0:1], v[4:5]
	v_add_f64 v[18:19], v[6:7], v[2:3]
	v_add_f64 v[4:5], v[0:1], -v[4:5]
	v_add_f64 v[0:1], v[2:3], -v[6:7]
	s_waitcnt vmcnt(0)
	v_fma_f64 v[2:3], v[4:5], v[28:29], v[8:9]
	v_fma_f64 v[20:21], v[18:19], v[28:29], v[0:1]
	v_fma_f64 v[22:23], -v[4:5], v[28:29], v[8:9]
	v_fma_f64 v[24:25], v[18:19], v[28:29], -v[0:1]
	v_add_u32_e32 v0, 0xc4, v14
	v_add_u32_e32 v1, 0x126, v14
	v_lshlrev_b32_e32 v74, 5, v0
	v_lshlrev_b32_e32 v75, 5, v1
	v_fma_f64 v[6:7], -v[18:19], v[26:27], v[2:3]
	v_fma_f64 v[8:9], v[4:5], v[26:27], v[20:21]
	v_fma_f64 v[18:19], v[18:19], v[26:27], v[22:23]
	;; [unrolled: 1-line block ×3, first 2 shown]
	ds_write_b128 v43, v[6:9] offset:9408
	ds_write_b128 v11, v[18:21] offset:12544
	s_waitcnt lgkmcnt(0)
	s_barrier
	s_barrier
	ds_read_b128 v[6:9], v15 offset:10976
	ds_read_b128 v[18:21], v43
	ds_read_b128 v[22:25], v15 offset:1568
	ds_read_b128 v[26:29], v15 offset:9408
	;; [unrolled: 1-line block ×12, first 2 shown]
	s_waitcnt lgkmcnt(12)
	v_add_f64 v[6:7], v[18:19], -v[6:7]
	v_add_f64 v[8:9], v[20:21], -v[8:9]
	s_waitcnt lgkmcnt(9)
	v_add_f64 v[30:31], v[22:23], -v[30:31]
	v_add_f64 v[32:33], v[24:25], -v[32:33]
	;; [unrolled: 3-line block ×7, first 2 shown]
	v_add_u32_e32 v3, 0x1ea, v14
	v_add_u32_e32 v4, 0x24c, v14
	v_fma_f64 v[18:19], v[18:19], 2.0, -v[6:7]
	v_fma_f64 v[20:21], v[20:21], 2.0, -v[8:9]
	v_lshlrev_b32_e32 v11, 5, v45
	s_barrier
	ds_write_b128 v10, v[6:9] offset:16
	v_fma_f64 v[6:7], v[22:23], 2.0, -v[30:31]
	v_fma_f64 v[8:9], v[24:25], 2.0, -v[32:33]
	v_lshlrev_b32_e32 v22, 5, v3
	v_lshlrev_b32_e32 v23, 5, v4
	v_add_u32_e32 v2, 0x188, v14
	v_add3_u32 v11, 0, v11, v44
	v_add3_u32 v78, 0, v22, v44
	;; [unrolled: 1-line block ×3, first 2 shown]
	v_fma_f64 v[22:23], v[38:39], 2.0, -v[34:35]
	v_fma_f64 v[24:25], v[40:41], 2.0, -v[36:37]
	v_and_b32_e32 v5, 1, v14
	v_lshlrev_b32_e32 v76, 5, v2
	v_add3_u32 v74, 0, v74, v44
	ds_write_b128 v11, v[30:33] offset:16
	v_fma_f64 v[30:31], v[46:47], 2.0, -v[50:51]
	v_fma_f64 v[32:33], v[48:49], 2.0, -v[52:53]
	v_lshlrev_b32_e32 v77, 4, v5
	v_add3_u32 v75, 0, v75, v44
	v_add3_u32 v76, 0, v76, v44
	ds_write_b128 v74, v[34:37] offset:16
	v_fma_f64 v[34:35], v[58:59], 2.0, -v[54:55]
	v_fma_f64 v[36:37], v[60:61], 2.0, -v[56:57]
	ds_write_b128 v75, v[50:53] offset:16
	v_fma_f64 v[38:39], v[62:63], 2.0, -v[66:67]
	v_fma_f64 v[40:41], v[64:65], 2.0, -v[68:69]
	;; [unrolled: 1-line block ×4, first 2 shown]
	ds_write_b128 v76, v[54:57] offset:16
	ds_write_b128 v78, v[66:69] offset:16
	;; [unrolled: 1-line block ×3, first 2 shown]
	ds_write_b128 v10, v[18:21]
	ds_write_b128 v11, v[6:9]
	;; [unrolled: 1-line block ×7, first 2 shown]
	s_waitcnt lgkmcnt(0)
	s_barrier
	global_load_dwordx4 v[6:9], v77, s[12:13]
	v_lshlrev_b32_e32 v11, 1, v45
	v_lshlrev_b32_e32 v0, 1, v0
	;; [unrolled: 1-line block ×7, first 2 shown]
	v_and_b32_e32 v47, 3, v14
	v_and_or_b32 v11, v11, s5, v5
	v_and_or_b32 v0, v0, s6, v5
	;; [unrolled: 1-line block ×7, first 2 shown]
	v_mul_u32_u24_e32 v18, 6, v47
	v_lshlrev_b32_e32 v5, 4, v11
	v_lshlrev_b32_e32 v0, 4, v0
	;; [unrolled: 1-line block ×8, first 2 shown]
	v_add3_u32 v85, 0, v5, v44
	v_add3_u32 v86, 0, v0, v44
	;; [unrolled: 1-line block ×6, first 2 shown]
	ds_read_b128 v[0:3], v15 offset:10976
	ds_read_b128 v[18:21], v15 offset:9408
	;; [unrolled: 1-line block ×8, first 2 shown]
	ds_read_b128 v[52:55], v43
	v_add3_u32 v84, 0, v10, v44
	ds_read_b128 v[56:59], v15 offset:1568
	s_mov_b32 s8, 0xe976ee23
	s_mov_b32 s6, 0x429ad128
	;; [unrolled: 1-line block ×6, first 2 shown]
	s_waitcnt vmcnt(0) lgkmcnt(9)
	v_mul_f64 v[4:5], v[2:3], v[8:9]
	v_mul_f64 v[10:11], v[0:1], v[8:9]
	s_waitcnt lgkmcnt(7)
	v_mul_f64 v[60:61], v[24:25], v[8:9]
	s_waitcnt lgkmcnt(6)
	;; [unrolled: 2-line block ×3, first 2 shown]
	v_mul_f64 v[68:69], v[32:33], v[8:9]
	v_mul_f64 v[62:63], v[22:23], v[8:9]
	;; [unrolled: 1-line block ×3, first 2 shown]
	v_fma_f64 v[4:5], v[0:1], v[6:7], -v[4:5]
	v_mul_f64 v[0:1], v[30:31], v[8:9]
	v_fma_f64 v[10:11], v[2:3], v[6:7], v[10:11]
	s_waitcnt lgkmcnt(4)
	v_mul_f64 v[2:3], v[36:37], v[8:9]
	v_fma_f64 v[60:61], v[22:23], v[6:7], -v[60:61]
	v_mul_f64 v[22:23], v[34:35], v[8:9]
	v_fma_f64 v[66:67], v[28:29], v[6:7], v[66:67]
	s_waitcnt lgkmcnt(2)
	v_mul_f64 v[28:29], v[50:51], v[8:9]
	v_fma_f64 v[68:69], v[30:31], v[6:7], -v[68:69]
	v_mul_f64 v[30:31], v[48:49], v[8:9]
	v_fma_f64 v[62:63], v[24:25], v[6:7], v[62:63]
	v_mul_f64 v[24:25], v[40:41], v[8:9]
	v_fma_f64 v[64:65], v[26:27], v[6:7], -v[64:65]
	v_mul_f64 v[26:27], v[38:39], v[8:9]
	v_fma_f64 v[70:71], v[32:33], v[6:7], v[0:1]
	v_fma_f64 v[72:73], v[34:35], v[6:7], -v[2:3]
	ds_read_b128 v[0:3], v15 offset:3136
	v_fma_f64 v[74:75], v[36:37], v[6:7], v[22:23]
	s_waitcnt lgkmcnt(2)
	v_add_f64 v[8:9], v[52:53], -v[4:5]
	v_add_f64 v[10:11], v[54:55], -v[10:11]
	v_fma_f64 v[80:81], v[48:49], v[6:7], -v[28:29]
	v_fma_f64 v[82:83], v[50:51], v[6:7], v[30:31]
	v_fma_f64 v[76:77], v[38:39], v[6:7], -v[24:25]
	v_fma_f64 v[78:79], v[40:41], v[6:7], v[26:27]
	ds_read_b128 v[22:25], v15 offset:4704
	ds_read_b128 v[4:7], v15 offset:6272
	s_waitcnt lgkmcnt(3)
	v_add_f64 v[34:35], v[56:57], -v[60:61]
	v_add_f64 v[36:37], v[58:59], -v[62:63]
	ds_read_b128 v[30:33], v15 offset:7840
	s_waitcnt lgkmcnt(3)
	v_add_f64 v[38:39], v[0:1], -v[64:65]
	v_add_f64 v[40:41], v[2:3], -v[66:67]
	s_waitcnt lgkmcnt(2)
	v_add_f64 v[48:49], v[22:23], -v[68:69]
	v_add_f64 v[50:51], v[24:25], -v[70:71]
	v_fma_f64 v[26:27], v[52:53], 2.0, -v[8:9]
	v_fma_f64 v[28:29], v[54:55], 2.0, -v[10:11]
	s_waitcnt lgkmcnt(1)
	v_add_f64 v[52:53], v[4:5], -v[72:73]
	v_add_f64 v[54:55], v[6:7], -v[74:75]
	v_add_f64 v[64:65], v[18:19], -v[80:81]
	v_add_f64 v[66:67], v[20:21], -v[82:83]
	s_waitcnt lgkmcnt(0)
	v_add_f64 v[60:61], v[30:31], -v[76:77]
	v_add_f64 v[62:63], v[32:33], -v[78:79]
	s_barrier
	ds_write_b128 v84, v[8:11] offset:32
	v_fma_f64 v[8:9], v[56:57], 2.0, -v[34:35]
	v_fma_f64 v[10:11], v[58:59], 2.0, -v[36:37]
	;; [unrolled: 1-line block ×12, first 2 shown]
	ds_write_b128 v84, v[26:29]
	ds_write_b128 v85, v[8:11]
	ds_write_b128 v85, v[34:37] offset:32
	ds_write_b128 v86, v[0:3]
	ds_write_b128 v86, v[38:41] offset:32
	;; [unrolled: 2-line block ×6, first 2 shown]
	s_waitcnt lgkmcnt(0)
	s_barrier
	global_load_dwordx4 v[0:3], v46, s[12:13] offset:32
	global_load_dwordx4 v[4:7], v46, s[12:13] offset:48
	;; [unrolled: 1-line block ×6, first 2 shown]
	v_and_b32_e32 v46, 3, v45
	v_mul_u32_u24_e32 v22, 6, v46
	v_lshlrev_b32_e32 v32, 4, v22
	global_load_dwordx4 v[56:59], v32, s[12:13] offset:32
	global_load_dwordx4 v[60:63], v32, s[12:13] offset:48
	;; [unrolled: 1-line block ×6, first 2 shown]
	ds_read_b128 v[22:25], v15 offset:3136
	ds_read_b128 v[26:29], v15 offset:6272
	s_waitcnt vmcnt(11) lgkmcnt(1)
	v_mul_f64 v[30:31], v[24:25], v[2:3]
	v_mul_f64 v[2:3], v[22:23], v[2:3]
	s_waitcnt vmcnt(10) lgkmcnt(0)
	v_mul_f64 v[32:33], v[28:29], v[6:7]
	v_mul_f64 v[6:7], v[26:27], v[6:7]
	v_fma_f64 v[22:23], v[22:23], v[0:1], -v[30:31]
	v_fma_f64 v[24:25], v[24:25], v[0:1], v[2:3]
	ds_read_b128 v[0:3], v15 offset:9408
	ds_read_b128 v[34:37], v15 offset:12544
	v_fma_f64 v[26:27], v[26:27], v[4:5], -v[32:33]
	v_fma_f64 v[28:29], v[28:29], v[4:5], v[6:7]
	s_waitcnt vmcnt(9) lgkmcnt(1)
	v_mul_f64 v[4:5], v[2:3], v[10:11]
	v_mul_f64 v[6:7], v[0:1], v[10:11]
	s_waitcnt vmcnt(8) lgkmcnt(0)
	v_mul_f64 v[10:11], v[36:37], v[20:21]
	v_mul_f64 v[20:21], v[34:35], v[20:21]
	v_fma_f64 v[30:31], v[0:1], v[8:9], -v[4:5]
	v_fma_f64 v[32:33], v[2:3], v[8:9], v[6:7]
	ds_read_b128 v[0:3], v15 offset:15680
	ds_read_b128 v[4:7], v15 offset:18816
	v_fma_f64 v[34:35], v[34:35], v[18:19], -v[10:11]
	v_fma_f64 v[36:37], v[36:37], v[18:19], v[20:21]
	;; [unrolled: 12-line block ×3, first 2 shown]
	ds_read_b128 v[18:21], v15 offset:10976
	ds_read_b128 v[48:51], v15 offset:14112
	s_waitcnt vmcnt(5) lgkmcnt(3)
	v_mul_f64 v[4:5], v[2:3], v[58:59]
	v_mul_f64 v[6:7], v[0:1], v[58:59]
	s_waitcnt vmcnt(4) lgkmcnt(2)
	v_mul_f64 v[52:53], v[10:11], v[62:63]
	v_mul_f64 v[54:55], v[8:9], v[62:63]
	s_waitcnt vmcnt(2) lgkmcnt(0)
	v_mul_f64 v[62:63], v[48:49], v[70:71]
	v_fma_f64 v[0:1], v[0:1], v[56:57], -v[4:5]
	v_fma_f64 v[2:3], v[2:3], v[56:57], v[6:7]
	v_fma_f64 v[4:5], v[8:9], v[60:61], -v[52:53]
	v_fma_f64 v[6:7], v[10:11], v[60:61], v[54:55]
	v_mul_f64 v[8:9], v[20:21], v[66:67]
	v_mul_f64 v[10:11], v[18:19], v[66:67]
	;; [unrolled: 1-line block ×3, first 2 shown]
	ds_read_b128 v[52:55], v15 offset:17248
	ds_read_b128 v[56:59], v15 offset:20384
	v_fma_f64 v[8:9], v[18:19], v[64:65], -v[8:9]
	v_fma_f64 v[10:11], v[20:21], v[64:65], v[10:11]
	v_fma_f64 v[18:19], v[48:49], v[68:69], -v[60:61]
	v_fma_f64 v[20:21], v[50:51], v[68:69], v[62:63]
	s_waitcnt vmcnt(1) lgkmcnt(1)
	v_mul_f64 v[48:49], v[54:55], v[74:75]
	v_mul_f64 v[50:51], v[52:53], v[74:75]
	s_waitcnt vmcnt(0) lgkmcnt(0)
	v_mul_f64 v[60:61], v[58:59], v[78:79]
	v_mul_f64 v[62:63], v[56:57], v[78:79]
	v_add_f64 v[74:75], v[24:25], -v[82:83]
	v_lshrrev_b32_e32 v78, 2, v14
	v_fma_f64 v[64:65], v[52:53], v[72:73], -v[48:49]
	v_fma_f64 v[66:67], v[54:55], v[72:73], v[50:51]
	v_add_f64 v[48:49], v[22:23], v[80:81]
	v_add_f64 v[50:51], v[26:27], v[38:39]
	;; [unrolled: 1-line block ×4, first 2 shown]
	v_fma_f64 v[56:57], v[56:57], v[76:77], -v[60:61]
	v_fma_f64 v[58:59], v[58:59], v[76:77], v[62:63]
	v_add_f64 v[60:61], v[30:31], v[34:35]
	v_add_f64 v[62:63], v[32:33], v[36:37]
	v_add_f64 v[72:73], v[22:23], -v[80:81]
	v_add_f64 v[68:69], v[50:51], v[48:49]
	v_add_f64 v[26:27], v[26:27], -v[38:39]
	;; [unrolled: 2-line block ×3, first 2 shown]
	v_add_f64 v[30:31], v[34:35], -v[30:31]
	v_add_f64 v[32:33], v[36:37], -v[32:33]
	v_add_f64 v[34:35], v[50:51], -v[48:49]
	v_add_f64 v[36:37], v[60:61], -v[50:51]
	v_add_f64 v[38:39], v[60:61], v[68:69]
	v_add_f64 v[50:51], v[54:55], -v[52:53]
	v_add_f64 v[40:41], v[62:63], v[70:71]
	v_add_f64 v[54:55], v[62:63], -v[54:55]
	;; [unrolled: 2-line block ×3, first 2 shown]
	v_add_f64 v[26:27], v[26:27], -v[72:73]
	v_add_f64 v[52:53], v[52:53], -v[62:63]
	;; [unrolled: 1-line block ×4, first 2 shown]
	v_add_f64 v[60:61], v[32:33], v[28:29]
	v_add_f64 v[28:29], v[28:29], -v[74:75]
	v_add_f64 v[30:31], v[72:73], -v[30:31]
	v_add_f64 v[68:69], v[68:69], v[72:73]
	v_mul_f64 v[70:71], v[70:71], s[8:9]
	v_mul_f64 v[72:73], v[26:27], s[6:7]
	v_mul_f64 v[62:63], v[62:63], s[8:9]
	v_add_f64 v[32:33], v[74:75], -v[32:33]
	v_add_f64 v[60:61], v[60:61], v[74:75]
	v_mul_f64 v[74:75], v[28:29], s[6:7]
	ds_read_b128 v[22:25], v43
	v_mul_f64 v[48:49], v[48:49], s[22:23]
	v_fma_f64 v[76:77], v[26:27], s[6:7], -v[70:71]
	v_fma_f64 v[72:73], v[30:31], s[26:27], -v[72:73]
	v_fma_f64 v[30:31], v[30:31], s[24:25], v[70:71]
	v_mul_f64 v[26:27], v[36:37], s[4:5]
	v_fma_f64 v[70:71], v[28:29], s[6:7], -v[62:63]
	v_mul_f64 v[28:29], v[54:55], s[4:5]
	v_fma_f64 v[74:75], v[32:33], s[26:27], -v[74:75]
	v_fma_f64 v[32:33], v[32:33], s[24:25], v[62:63]
	v_mul_u32_u24_e32 v62, 28, v78
	v_mul_f64 v[52:53], v[52:53], s[22:23]
	v_or_b32_e32 v47, v62, v47
	v_fma_f64 v[62:63], v[34:35], s[16:17], -v[26:27]
	v_lshlrev_b32_e32 v47, 4, v47
	v_fma_f64 v[78:79], v[50:51], s[16:17], -v[28:29]
	ds_read_b128 v[26:29], v15 offset:1568
	s_waitcnt lgkmcnt(1)
	v_add_f64 v[22:23], v[22:23], v[38:39]
	v_add_f64 v[24:25], v[24:25], v[40:41]
	v_add3_u32 v82, 0, v47, v44
	v_fma_f64 v[34:35], v[34:35], s[20:21], -v[48:49]
	v_fma_f64 v[50:51], v[50:51], s[20:21], -v[52:53]
	v_fma_f64 v[36:37], v[36:37], s[4:5], v[48:49]
	v_fma_f64 v[47:48], v[54:55], s[4:5], v[52:53]
	;; [unrolled: 1-line block ×10, first 2 shown]
	s_waitcnt lgkmcnt(0)
	v_add_f64 v[32:33], v[62:63], v[38:39]
	v_add_f64 v[62:63], v[78:79], v[40:41]
	;; [unrolled: 1-line block ×6, first 2 shown]
	s_barrier
	v_add_f64 v[72:73], v[0:1], v[56:57]
	v_add_f64 v[74:75], v[4:5], v[64:65]
	v_add_f64 v[36:37], v[49:50], -v[54:55]
	v_add_f64 v[40:41], v[54:55], v[49:50]
	v_add_f64 v[47:48], v[60:61], v[78:79]
	v_add_f64 v[49:50], v[80:81], -v[68:69]
	ds_write_b128 v82, v[22:25]
	v_add_f64 v[22:23], v[32:33], -v[30:31]
	v_add_f64 v[24:25], v[52:53], v[62:63]
	v_add_f64 v[30:31], v[30:31], v[32:33]
	v_add_f64 v[32:33], v[62:63], -v[52:53]
	v_add_f64 v[34:35], v[70:71], v[76:77]
	v_add_f64 v[38:39], v[76:77], -v[70:71]
	v_add_f64 v[62:63], v[2:3], v[58:59]
	v_add_f64 v[70:71], v[6:7], v[66:67]
	v_add_f64 v[51:52], v[78:79], -v[60:61]
	v_add_f64 v[60:61], v[8:9], v[18:19]
	ds_write_b128 v82, v[47:50] offset:64
	v_add_f64 v[47:48], v[10:11], v[20:21]
	v_add_f64 v[6:7], v[6:7], -v[66:67]
	v_add_f64 v[10:11], v[20:21], -v[10:11]
	;; [unrolled: 1-line block ×4, first 2 shown]
	v_add_f64 v[53:54], v[68:69], v[80:81]
	v_add_f64 v[68:69], v[74:75], v[72:73]
	;; [unrolled: 1-line block ×3, first 2 shown]
	ds_write_b128 v82, v[34:37] offset:128
	ds_write_b128 v82, v[22:25] offset:192
	v_add_f64 v[0:1], v[0:1], -v[56:57]
	v_add_f64 v[2:3], v[2:3], -v[58:59]
	;; [unrolled: 1-line block ×4, first 2 shown]
	v_add_f64 v[68:69], v[60:61], v[68:69]
	v_add_f64 v[49:50], v[47:48], v[49:50]
	v_add_f64 v[18:19], v[60:61], -v[74:75]
	v_add_f64 v[20:21], v[47:48], -v[70:71]
	v_add_f64 v[55:56], v[10:11], v[6:7]
	v_add_f64 v[6:7], v[6:7], -v[2:3]
	v_add_f64 v[66:67], v[8:9], v[4:5]
	v_mul_f64 v[24:25], v[24:25], s[8:9]
	v_add_f64 v[4:5], v[4:5], -v[0:1]
	v_mul_f64 v[36:37], v[36:37], s[8:9]
	ds_write_b128 v82, v[30:33] offset:256
	v_add_f64 v[30:31], v[72:73], -v[60:61]
	v_add_f64 v[32:33], v[62:63], -v[47:48]
	v_add_f64 v[26:27], v[26:27], v[68:69]
	v_add_f64 v[28:29], v[28:29], v[49:50]
	v_add_f64 v[22:23], v[74:75], -v[72:73]
	v_add_f64 v[34:35], v[70:71], -v[62:63]
	v_mul_f64 v[57:58], v[18:19], s[4:5]
	v_mul_f64 v[64:65], v[20:21], s[4:5]
	v_fma_f64 v[70:71], v[6:7], s[6:7], -v[24:25]
	v_fma_f64 v[74:75], v[4:5], s[6:7], -v[36:37]
	v_add_f64 v[8:9], v[0:1], -v[8:9]
	v_add_f64 v[10:11], v[2:3], -v[10:11]
	v_mul_f64 v[30:31], v[30:31], s[22:23]
	v_mul_f64 v[32:33], v[32:33], s[22:23]
	;; [unrolled: 1-line block ×4, first 2 shown]
	v_fma_f64 v[68:69], v[68:69], s[14:15], v[26:27]
	v_fma_f64 v[49:50], v[49:50], s[14:15], v[28:29]
	v_fma_f64 v[57:58], v[22:23], s[16:17], -v[57:58]
	v_fma_f64 v[64:65], v[34:35], s[16:17], -v[64:65]
	v_add_f64 v[66:67], v[66:67], v[0:1]
	v_add_f64 v[55:56], v[55:56], v[2:3]
	v_fma_f64 v[22:23], v[22:23], s[20:21], -v[30:31]
	v_fma_f64 v[34:35], v[34:35], s[20:21], -v[32:33]
	;; [unrolled: 1-line block ×4, first 2 shown]
	v_fma_f64 v[18:19], v[18:19], s[4:5], v[30:31]
	v_fma_f64 v[20:21], v[20:21], s[4:5], v[32:33]
	;; [unrolled: 1-line block ×4, first 2 shown]
	ds_write_b128 v82, v[38:41] offset:320
	ds_write_b128 v82, v[51:54] offset:384
	v_add_f64 v[22:23], v[22:23], v[68:69]
	v_add_f64 v[24:25], v[34:35], v[49:50]
	v_fma_f64 v[30:31], v[55:56], s[18:19], v[6:7]
	v_fma_f64 v[32:33], v[66:67], s[18:19], v[4:5]
	v_add_f64 v[34:35], v[18:19], v[68:69]
	v_add_f64 v[36:37], v[20:21], v[49:50]
	v_fma_f64 v[38:39], v[55:56], s[18:19], v[10:11]
	v_fma_f64 v[40:41], v[66:67], s[18:19], v[8:9]
	;; [unrolled: 4-line block ×3, first 2 shown]
	v_add_f64 v[8:9], v[30:31], v[22:23]
	v_add_f64 v[10:11], v[24:25], -v[32:33]
	v_add_f64 v[18:19], v[22:23], -v[30:31]
	v_add_f64 v[20:21], v[32:33], v[24:25]
	v_add_f64 v[22:23], v[38:39], v[34:35]
	v_add_f64 v[24:25], v[36:37], -v[40:41]
	v_add_f64 v[0:1], v[47:48], -v[59:60]
	v_add_f64 v[2:3], v[61:62], v[57:58]
	v_add_f64 v[30:31], v[34:35], -v[38:39]
	v_lshrrev_b32_e32 v34, 2, v45
	v_add_f64 v[4:5], v[59:60], v[47:48]
	v_add_f64 v[6:7], v[57:58], -v[61:62]
	v_mul_u32_u24_e32 v34, 28, v34
	v_or_b32_e32 v34, v34, v46
	v_add_f64 v[32:33], v[40:41], v[36:37]
	v_lshlrev_b32_e32 v34, 4, v34
	v_add3_u32 v34, 0, v34, v44
	ds_write_b128 v34, v[26:29]
	ds_write_b128 v34, v[22:25] offset:64
	ds_write_b128 v34, v[8:11] offset:128
	ds_write_b128 v34, v[0:3] offset:192
	ds_write_b128 v34, v[4:7] offset:256
	ds_write_b128 v34, v[18:21] offset:320
	ds_write_b128 v34, v[30:33] offset:384
	v_lshrrev_b16_e32 v0, 2, v14
	v_and_b32_e32 v0, 63, v0
	v_mul_lo_u16_e32 v0, 37, v0
	v_lshrrev_b16_e32 v24, 8, v0
	v_mul_lo_u16_e32 v0, 28, v24
	v_sub_u16_e32 v25, v14, v0
	v_mov_b32_e32 v34, 6
	v_mul_u32_u24_sdwa v0, v25, v34 dst_sel:DWORD dst_unused:UNUSED_PAD src0_sel:BYTE_0 src1_sel:DWORD
	v_lshlrev_b32_e32 v22, 4, v0
	s_waitcnt lgkmcnt(0)
	s_barrier
	global_load_dwordx4 v[0:3], v22, s[12:13] offset:416
	global_load_dwordx4 v[4:7], v22, s[12:13] offset:432
	global_load_dwordx4 v[8:11], v22, s[12:13] offset:448
	global_load_dwordx4 v[18:21], v22, s[12:13] offset:464
	global_load_dwordx4 v[26:29], v22, s[12:13] offset:480
	global_load_dwordx4 v[30:33], v22, s[12:13] offset:496
	v_lshrrev_b16_e32 v22, 2, v45
	v_and_b32_e32 v22, 63, v22
	v_mul_lo_u16_e32 v22, 37, v22
	v_lshrrev_b16_e32 v22, 8, v22
	v_mul_lo_u16_e32 v23, 28, v22
	v_sub_u16_e32 v23, v45, v23
	v_mul_u32_u24_sdwa v34, v23, v34 dst_sel:DWORD dst_unused:UNUSED_PAD src0_sel:BYTE_0 src1_sel:DWORD
	v_lshlrev_b32_e32 v65, 4, v34
	global_load_dwordx4 v[34:37], v65, s[12:13] offset:416
	global_load_dwordx4 v[38:41], v65, s[12:13] offset:432
	;; [unrolled: 1-line block ×5, first 2 shown]
	ds_read_b128 v[53:56], v15 offset:3136
	ds_read_b128 v[61:64], v15 offset:6272
	global_load_dwordx4 v[65:68], v65, s[12:13] offset:496
	v_mad_u32_u24 v24, v24, s28, 0
	v_mad_u32_u24 v22, v22, s28, 0
	s_waitcnt vmcnt(11) lgkmcnt(1)
	v_mul_f64 v[69:70], v[55:56], v[2:3]
	v_mul_f64 v[2:3], v[53:54], v[2:3]
	v_fma_f64 v[53:54], v[53:54], v[0:1], -v[69:70]
	s_waitcnt vmcnt(10) lgkmcnt(0)
	v_mul_f64 v[69:70], v[63:64], v[6:7]
	v_mul_f64 v[6:7], v[61:62], v[6:7]
	v_fma_f64 v[55:56], v[55:56], v[0:1], v[2:3]
	ds_read_b128 v[0:3], v15 offset:9408
	v_fma_f64 v[61:62], v[61:62], v[4:5], -v[69:70]
	v_fma_f64 v[63:64], v[63:64], v[4:5], v[6:7]
	ds_read_b128 v[4:7], v15 offset:12544
	s_waitcnt vmcnt(9) lgkmcnt(1)
	v_mul_f64 v[71:72], v[2:3], v[10:11]
	v_mul_f64 v[10:11], v[0:1], v[10:11]
	v_fma_f64 v[69:70], v[0:1], v[8:9], -v[71:72]
	v_fma_f64 v[71:72], v[2:3], v[8:9], v[10:11]
	ds_read_b128 v[0:3], v15 offset:15680
	s_waitcnt vmcnt(8) lgkmcnt(1)
	v_mul_f64 v[8:9], v[6:7], v[20:21]
	v_mul_f64 v[10:11], v[4:5], v[20:21]
	s_waitcnt vmcnt(7) lgkmcnt(0)
	v_mul_f64 v[20:21], v[2:3], v[28:29]
	v_mul_f64 v[28:29], v[0:1], v[28:29]
	v_fma_f64 v[73:74], v[4:5], v[18:19], -v[8:9]
	v_fma_f64 v[75:76], v[6:7], v[18:19], v[10:11]
	ds_read_b128 v[4:7], v15 offset:18816
	ds_read_b128 v[8:11], v15 offset:4704
	v_fma_f64 v[77:78], v[0:1], v[26:27], -v[20:21]
	v_fma_f64 v[79:80], v[2:3], v[26:27], v[28:29]
	s_waitcnt vmcnt(6) lgkmcnt(1)
	v_mul_f64 v[0:1], v[6:7], v[32:33]
	v_mul_f64 v[2:3], v[4:5], v[32:33]
	s_waitcnt vmcnt(5) lgkmcnt(0)
	v_mul_f64 v[26:27], v[10:11], v[36:37]
	v_mul_f64 v[28:29], v[8:9], v[36:37]
	v_fma_f64 v[36:37], v[4:5], v[30:31], -v[0:1]
	v_fma_f64 v[81:82], v[6:7], v[30:31], v[2:3]
	ds_read_b128 v[4:7], v15 offset:7840
	ds_read_b128 v[18:21], v15 offset:10976
	v_fma_f64 v[0:1], v[8:9], v[34:35], -v[26:27]
	v_fma_f64 v[2:3], v[10:11], v[34:35], v[28:29]
	ds_read_b128 v[26:29], v15 offset:14112
	ds_read_b128 v[30:33], v15 offset:17248
	s_waitcnt vmcnt(4) lgkmcnt(3)
	v_mul_f64 v[8:9], v[6:7], v[40:41]
	v_mul_f64 v[10:11], v[4:5], v[40:41]
	s_waitcnt vmcnt(3) lgkmcnt(2)
	v_mul_f64 v[34:35], v[20:21], v[47:48]
	v_mul_f64 v[40:41], v[18:19], v[47:48]
	v_fma_f64 v[4:5], v[4:5], v[38:39], -v[8:9]
	v_fma_f64 v[6:7], v[6:7], v[38:39], v[10:11]
	v_fma_f64 v[8:9], v[18:19], v[45:46], -v[34:35]
	v_fma_f64 v[18:19], v[20:21], v[45:46], v[40:41]
	s_waitcnt vmcnt(2) lgkmcnt(1)
	v_mul_f64 v[10:11], v[28:29], v[51:52]
	v_mul_f64 v[20:21], v[26:27], v[51:52]
	s_waitcnt vmcnt(1) lgkmcnt(0)
	v_mul_f64 v[34:35], v[32:33], v[59:60]
	v_mul_f64 v[38:39], v[30:31], v[59:60]
	v_add_f64 v[40:41], v[55:56], v[81:82]
	v_add_f64 v[45:46], v[63:64], v[79:80]
	v_add_f64 v[51:52], v[63:64], -v[79:80]
	v_add_f64 v[59:60], v[73:74], -v[69:70]
	v_fma_f64 v[10:11], v[26:27], v[49:50], -v[10:11]
	v_fma_f64 v[20:21], v[28:29], v[49:50], v[20:21]
	ds_read_b128 v[26:29], v15 offset:20384
	v_fma_f64 v[83:84], v[30:31], v[57:58], -v[34:35]
	v_fma_f64 v[85:86], v[32:33], v[57:58], v[38:39]
	v_add_f64 v[34:35], v[53:54], v[36:37]
	v_add_f64 v[38:39], v[61:62], v[77:78]
	s_waitcnt vmcnt(0) lgkmcnt(0)
	v_mul_f64 v[30:31], v[28:29], v[67:68]
	v_mul_f64 v[32:33], v[26:27], v[67:68]
	v_add_f64 v[57:58], v[61:62], -v[77:78]
	v_add_f64 v[61:62], v[75:76], -v[71:72]
	;; [unrolled: 1-line block ×6, first 2 shown]
	v_fma_f64 v[67:68], v[26:27], v[65:66], -v[30:31]
	v_fma_f64 v[65:66], v[28:29], v[65:66], v[32:33]
	v_add_f64 v[30:31], v[69:70], v[73:74]
	v_add_f64 v[26:27], v[38:39], v[34:35]
	v_add_f64 v[32:33], v[71:72], v[75:76]
	v_add_f64 v[28:29], v[45:46], v[40:41]
	v_add_f64 v[69:70], v[59:60], v[57:58]
	v_add_f64 v[71:72], v[61:62], -v[51:52]
	v_add_f64 v[38:39], v[30:31], -v[38:39]
	v_add_f64 v[47:48], v[30:31], v[26:27]
	v_add_f64 v[45:46], v[32:33], -v[45:46]
	v_add_f64 v[49:50], v[32:33], v[28:29]
	;; [unrolled: 2-line block ×3, first 2 shown]
	v_add_f64 v[32:33], v[40:41], -v[32:33]
	v_add_f64 v[51:52], v[51:52], -v[53:54]
	;; [unrolled: 1-line block ×4, first 2 shown]
	v_add_f64 v[69:70], v[69:70], v[36:37]
	v_add_f64 v[36:37], v[36:37], -v[59:60]
	v_mul_f64 v[59:60], v[38:39], s[4:5]
	v_add_f64 v[73:74], v[34:35], v[53:54]
	v_add_f64 v[34:35], v[53:54], -v[61:62]
	v_mul_f64 v[53:54], v[45:46], s[4:5]
	v_mul_f64 v[30:31], v[30:31], s[22:23]
	;; [unrolled: 1-line block ×3, first 2 shown]
	ds_read_b128 v[26:29], v43
	v_mul_f64 v[61:62], v[71:72], s[8:9]
	v_fma_f64 v[59:60], v[55:56], s[16:17], -v[59:60]
	v_mul_f64 v[40:41], v[40:41], s[8:9]
	v_fma_f64 v[53:54], v[63:64], s[16:17], -v[53:54]
	v_fma_f64 v[55:56], v[55:56], s[20:21], -v[30:31]
	v_fma_f64 v[38:39], v[38:39], s[4:5], v[30:31]
	v_mul_f64 v[30:31], v[51:52], s[6:7]
	v_fma_f64 v[63:64], v[63:64], s[20:21], -v[32:33]
	v_fma_f64 v[45:46], v[45:46], s[4:5], v[32:33]
	v_mul_f64 v[32:33], v[57:58], s[6:7]
	v_fma_f64 v[51:52], v[51:52], s[6:7], -v[61:62]
	v_fma_f64 v[57:58], v[57:58], s[6:7], -v[40:41]
	v_fma_f64 v[40:41], v[36:37], s[24:25], v[40:41]
	v_fma_f64 v[61:62], v[34:35], s[24:25], v[61:62]
	v_fma_f64 v[71:72], v[34:35], s[26:27], -v[30:31]
	v_fma_f64 v[75:76], v[36:37], s[26:27], -v[32:33]
	ds_read_b128 v[30:33], v15 offset:1568
	s_waitcnt lgkmcnt(1)
	v_add_f64 v[26:27], v[26:27], v[47:48]
	v_add_f64 v[28:29], v[28:29], v[49:50]
	v_fma_f64 v[51:52], v[73:74], s[18:19], v[51:52]
	v_fma_f64 v[57:58], v[69:70], s[18:19], v[57:58]
	;; [unrolled: 1-line block ×8, first 2 shown]
	s_waitcnt lgkmcnt(0)
	s_barrier
	v_add_f64 v[59:60], v[59:60], v[47:48]
	v_add_f64 v[55:56], v[55:56], v[47:48]
	;; [unrolled: 1-line block ×6, first 2 shown]
	v_add_f64 v[34:35], v[59:60], -v[51:52]
	v_add_f64 v[38:39], v[51:52], v[59:60]
	v_add_f64 v[45:46], v[71:72], v[55:56]
	v_add_f64 v[47:48], v[63:64], -v[75:76]
	v_add_f64 v[49:50], v[55:56], -v[71:72]
	v_add_f64 v[51:52], v[75:76], v[63:64]
	v_add_f64 v[55:56], v[79:80], -v[69:70]
	v_add_f64 v[59:60], v[69:70], v[79:80]
	v_add_f64 v[63:64], v[2:3], v[65:66]
	;; [unrolled: 1-line block ×4, first 2 shown]
	v_add_f64 v[40:41], v[53:54], -v[57:58]
	v_add_f64 v[53:54], v[61:62], v[77:78]
	v_mov_b32_e32 v71, 4
	v_lshlrev_b32_sdwa v25, v71, v25 dst_sel:DWORD dst_unused:UNUSED_PAD src0_sel:DWORD src1_sel:BYTE_0
	v_add3_u32 v72, v24, v25, v44
	ds_write_b128 v72, v[26:29]
	ds_write_b128 v72, v[53:56] offset:448
	v_add_f64 v[53:54], v[18:19], v[20:21]
	v_add_f64 v[55:56], v[69:70], v[63:64]
	v_add_f64 v[57:58], v[77:78], -v[61:62]
	v_add_f64 v[24:25], v[0:1], v[67:68]
	v_add_f64 v[61:62], v[4:5], v[83:84]
	ds_write_b128 v72, v[45:48] offset:896
	ds_write_b128 v72, v[34:37] offset:1344
	;; [unrolled: 1-line block ×3, first 2 shown]
	v_add_f64 v[6:7], v[6:7], -v[85:86]
	v_add_f64 v[34:35], v[20:21], -v[18:19]
	v_add_f64 v[26:27], v[8:9], v[10:11]
	v_add_f64 v[55:56], v[53:54], v[55:56]
	v_add_f64 v[2:3], v[2:3], -v[65:66]
	v_add_f64 v[4:5], v[4:5], -v[83:84]
	v_add_f64 v[28:29], v[61:62], v[24:25]
	v_add_f64 v[8:9], v[10:11], -v[8:9]
	v_add_f64 v[0:1], v[0:1], -v[67:68]
	v_add_f64 v[45:46], v[34:35], v[6:7]
	ds_write_b128 v72, v[49:52] offset:2240
	v_add_f64 v[20:21], v[32:33], v[55:56]
	v_add_f64 v[32:33], v[34:35], -v[6:7]
	v_add_f64 v[6:7], v[6:7], -v[2:3]
	v_add_f64 v[28:29], v[26:27], v[28:29]
	v_add_f64 v[47:48], v[8:9], -v[4:5]
	v_add_f64 v[10:11], v[61:62], -v[24:25]
	v_add_f64 v[36:37], v[53:54], -v[69:70]
	v_add_f64 v[51:52], v[8:9], v[4:5]
	v_add_f64 v[4:5], v[4:5], -v[0:1]
	v_mul_f64 v[32:33], v[32:33], s[8:9]
	v_add_f64 v[45:46], v[45:46], v[2:3]
	v_add_f64 v[18:19], v[30:31], v[28:29]
	v_add_f64 v[30:31], v[26:27], -v[61:62]
	v_mul_f64 v[47:48], v[47:48], s[8:9]
	v_add_f64 v[24:25], v[24:25], -v[26:27]
	v_add_f64 v[26:27], v[63:64], -v[53:54]
	;; [unrolled: 1-line block ×3, first 2 shown]
	v_fma_f64 v[61:62], v[6:7], s[6:7], -v[32:33]
	v_mul_f64 v[49:50], v[36:37], s[4:5]
	v_add_f64 v[8:9], v[0:1], -v[8:9]
	v_mul_f64 v[38:39], v[30:31], s[4:5]
	v_add_f64 v[2:3], v[2:3], -v[34:35]
	v_mul_f64 v[24:25], v[24:25], s[22:23]
	v_mul_f64 v[26:27], v[26:27], s[22:23]
	;; [unrolled: 1-line block ×3, first 2 shown]
	v_fma_f64 v[53:54], v[45:46], s[18:19], v[61:62]
	v_fma_f64 v[61:62], v[4:5], s[6:7], -v[47:48]
	v_mul_f64 v[4:5], v[4:5], s[6:7]
	v_fma_f64 v[28:29], v[28:29], s[14:15], v[18:19]
	v_fma_f64 v[38:39], v[10:11], s[16:17], -v[38:39]
	v_fma_f64 v[55:56], v[55:56], s[14:15], v[20:21]
	v_fma_f64 v[49:50], v[40:41], s[16:17], -v[49:50]
	v_add_f64 v[51:52], v[51:52], v[0:1]
	v_fma_f64 v[10:11], v[10:11], s[20:21], -v[24:25]
	v_fma_f64 v[40:41], v[40:41], s[20:21], -v[26:27]
	;; [unrolled: 1-line block ×4, first 2 shown]
	v_fma_f64 v[24:25], v[30:31], s[4:5], v[24:25]
	v_fma_f64 v[26:27], v[36:37], s[4:5], v[26:27]
	;; [unrolled: 1-line block ×4, first 2 shown]
	v_add_f64 v[34:35], v[49:50], v[55:56]
	v_fma_f64 v[49:50], v[51:52], s[18:19], v[61:62]
	v_add_f64 v[30:31], v[10:11], v[28:29]
	v_add_f64 v[32:33], v[40:41], v[55:56]
	v_fma_f64 v[36:37], v[45:46], s[18:19], v[6:7]
	v_fma_f64 v[40:41], v[51:52], s[18:19], v[4:5]
	v_add_f64 v[47:48], v[24:25], v[28:29]
	v_add_f64 v[55:56], v[26:27], v[55:56]
	v_fma_f64 v[45:46], v[45:46], s[18:19], v[2:3]
	v_fma_f64 v[51:52], v[51:52], s[18:19], v[8:9]
	v_add_f64 v[38:39], v[38:39], v[28:29]
	v_add_f64 v[2:3], v[49:50], v[34:35]
	v_add_f64 v[8:9], v[36:37], v[30:31]
	v_add_f64 v[24:25], v[30:31], -v[36:37]
	v_add_f64 v[10:11], v[32:33], -v[40:41]
	;; [unrolled: 1-line block ×3, first 2 shown]
	v_add_f64 v[28:29], v[45:46], v[47:48]
	v_add_f64 v[30:31], v[55:56], -v[51:52]
	v_add_f64 v[0:1], v[38:39], -v[53:54]
	v_add_f64 v[4:5], v[53:54], v[38:39]
	v_add_f64 v[26:27], v[40:41], v[32:33]
	v_add_f64 v[32:33], v[47:48], -v[45:46]
	v_add_f64 v[34:35], v[51:52], v[55:56]
	v_lshlrev_b32_sdwa v23, v71, v23 dst_sel:DWORD dst_unused:UNUSED_PAD src0_sel:DWORD src1_sel:BYTE_0
	v_add3_u32 v22, v22, v23, v44
	ds_write_b128 v72, v[57:60] offset:2688
	ds_write_b128 v22, v[18:21]
	ds_write_b128 v22, v[28:31] offset:448
	ds_write_b128 v22, v[8:11] offset:896
	;; [unrolled: 1-line block ×6, first 2 shown]
	v_mul_u32_u24_e32 v0, 6, v14
	v_lshlrev_b32_e32 v30, 4, v0
	s_waitcnt lgkmcnt(0)
	s_barrier
	global_load_dwordx4 v[0:3], v30, s[12:13] offset:3104
	global_load_dwordx4 v[4:7], v30, s[12:13] offset:3120
	;; [unrolled: 1-line block ×6, first 2 shown]
	v_mov_b32_e32 v31, s13
	v_add_co_u32_e32 v30, vcc, s12, v30
	v_addc_co_u32_e32 v31, vcc, 0, v31, vcc
	s_movk_i32 s12, 0x24c0
	v_add_co_u32_e32 v56, vcc, s12, v30
	v_addc_co_u32_e32 v57, vcc, 0, v31, vcc
	global_load_dwordx4 v[30:33], v[56:57], off offset:3104
	global_load_dwordx4 v[34:37], v[56:57], off offset:3120
	;; [unrolled: 1-line block ×6, first 2 shown]
	ds_read_b128 v[56:59], v15 offset:3136
	ds_read_b128 v[60:63], v15 offset:6272
	ds_read_b128 v[64:67], v15 offset:9408
	s_waitcnt vmcnt(11) lgkmcnt(2)
	v_mul_f64 v[68:69], v[58:59], v[2:3]
	v_mul_f64 v[2:3], v[56:57], v[2:3]
	s_waitcnt vmcnt(9) lgkmcnt(0)
	v_mul_f64 v[70:71], v[66:67], v[10:11]
	v_mul_f64 v[10:11], v[64:65], v[10:11]
	v_fma_f64 v[56:57], v[56:57], v[0:1], -v[68:69]
	v_mul_f64 v[68:69], v[62:63], v[6:7]
	v_mul_f64 v[6:7], v[60:61], v[6:7]
	v_fma_f64 v[58:59], v[58:59], v[0:1], v[2:3]
	ds_read_b128 v[0:3], v15 offset:12544
	v_fma_f64 v[64:65], v[64:65], v[8:9], -v[70:71]
	v_fma_f64 v[66:67], v[66:67], v[8:9], v[10:11]
	ds_read_b128 v[8:11], v15 offset:18816
	v_fma_f64 v[60:61], v[60:61], v[4:5], -v[68:69]
	v_fma_f64 v[62:63], v[62:63], v[4:5], v[6:7]
	ds_read_b128 v[4:7], v15 offset:15680
	s_waitcnt vmcnt(8) lgkmcnt(2)
	v_mul_f64 v[68:69], v[2:3], v[20:21]
	v_mul_f64 v[20:21], v[0:1], v[20:21]
	s_waitcnt vmcnt(7) lgkmcnt(0)
	v_mul_f64 v[70:71], v[6:7], v[24:25]
	v_mul_f64 v[24:25], v[4:5], v[24:25]
	v_fma_f64 v[68:69], v[0:1], v[18:19], -v[68:69]
	v_fma_f64 v[72:73], v[2:3], v[18:19], v[20:21]
	ds_read_b128 v[0:3], v15 offset:4704
	s_waitcnt vmcnt(6)
	v_mul_f64 v[18:19], v[10:11], v[28:29]
	v_fma_f64 v[70:71], v[4:5], v[22:23], -v[70:71]
	v_mul_f64 v[20:21], v[8:9], v[28:29]
	v_fma_f64 v[22:23], v[6:7], v[22:23], v[24:25]
	ds_read_b128 v[4:7], v15 offset:7840
	s_waitcnt vmcnt(5) lgkmcnt(1)
	v_mul_f64 v[24:25], v[2:3], v[32:33]
	v_mul_f64 v[28:29], v[0:1], v[32:33]
	v_fma_f64 v[32:33], v[8:9], v[26:27], -v[18:19]
	v_fma_f64 v[26:27], v[10:11], v[26:27], v[20:21]
	ds_read_b128 v[8:11], v15 offset:10976
	v_fma_f64 v[18:19], v[0:1], v[30:31], -v[24:25]
	s_waitcnt vmcnt(4) lgkmcnt(1)
	v_mul_f64 v[24:25], v[6:7], v[36:37]
	v_mul_f64 v[36:37], v[4:5], v[36:37]
	v_fma_f64 v[20:21], v[2:3], v[30:31], v[28:29]
	ds_read_b128 v[0:3], v15 offset:14112
	s_waitcnt vmcnt(3) lgkmcnt(1)
	v_mul_f64 v[28:29], v[10:11], v[40:41]
	v_mul_f64 v[30:31], v[8:9], v[40:41]
	v_fma_f64 v[74:75], v[4:5], v[34:35], -v[24:25]
	v_fma_f64 v[76:77], v[6:7], v[34:35], v[36:37]
	ds_read_b128 v[4:7], v15 offset:17248
	s_waitcnt vmcnt(2) lgkmcnt(1)
	v_mul_f64 v[24:25], v[2:3], v[46:47]
	v_fma_f64 v[78:79], v[8:9], v[38:39], -v[28:29]
	v_fma_f64 v[80:81], v[10:11], v[38:39], v[30:31]
	ds_read_b128 v[8:11], v15 offset:20384
	v_mul_f64 v[28:29], v[0:1], v[46:47]
	s_waitcnt vmcnt(1) lgkmcnt(1)
	v_mul_f64 v[30:31], v[6:7], v[50:51]
	v_mul_f64 v[34:35], v[4:5], v[50:51]
	v_add_f64 v[36:37], v[72:73], -v[66:67]
	v_fma_f64 v[46:47], v[0:1], v[44:45], -v[24:25]
	s_waitcnt vmcnt(0) lgkmcnt(0)
	v_mul_f64 v[0:1], v[10:11], v[54:55]
	v_add_f64 v[24:25], v[58:59], v[26:27]
	v_add_f64 v[38:39], v[60:61], -v[70:71]
	v_fma_f64 v[44:45], v[2:3], v[44:45], v[28:29]
	v_fma_f64 v[50:51], v[4:5], v[48:49], -v[30:31]
	v_fma_f64 v[48:49], v[6:7], v[48:49], v[34:35]
	v_mul_f64 v[2:3], v[8:9], v[54:55]
	v_add_f64 v[4:5], v[56:57], v[32:33]
	v_add_f64 v[6:7], v[60:61], v[70:71]
	;; [unrolled: 1-line block ×3, first 2 shown]
	v_fma_f64 v[54:55], v[8:9], v[52:53], -v[0:1]
	v_add_f64 v[8:9], v[64:65], v[68:69]
	v_add_f64 v[22:23], v[62:63], -v[22:23]
	v_add_f64 v[60:61], v[68:69], -v[64:65]
	v_fma_f64 v[52:53], v[10:11], v[52:53], v[2:3]
	v_add_f64 v[10:11], v[66:67], v[72:73]
	v_add_f64 v[0:1], v[6:7], v[4:5]
	;; [unrolled: 1-line block ×3, first 2 shown]
	v_add_f64 v[32:33], v[56:57], -v[32:33]
	v_add_f64 v[26:27], v[58:59], -v[26:27]
	;; [unrolled: 1-line block ×6, first 2 shown]
	v_add_f64 v[30:31], v[8:9], v[0:1]
	v_add_f64 v[34:35], v[10:11], v[2:3]
	v_add_f64 v[4:5], v[4:5], -v[8:9]
	v_add_f64 v[8:9], v[60:61], -v[38:39]
	ds_read_b128 v[0:3], v43
	v_add_f64 v[28:29], v[28:29], -v[24:25]
	v_add_f64 v[62:63], v[36:37], v[22:23]
	v_add_f64 v[22:23], v[22:23], -v[26:27]
	v_mul_f64 v[64:65], v[40:41], s[4:5]
	s_waitcnt lgkmcnt(0)
	v_add_f64 v[0:1], v[0:1], v[30:31]
	v_add_f64 v[2:3], v[2:3], v[34:35]
	v_mul_f64 v[66:67], v[56:57], s[4:5]
	v_mul_f64 v[58:59], v[58:59], s[8:9]
	v_add_f64 v[68:69], v[60:61], v[38:39]
	v_add_f64 v[38:39], v[38:39], -v[32:33]
	v_add_f64 v[10:11], v[24:25], -v[10:11]
	v_mul_f64 v[8:9], v[8:9], s[8:9]
	v_fma_f64 v[30:31], v[30:31], s[14:15], v[0:1]
	v_fma_f64 v[34:35], v[34:35], s[14:15], v[2:3]
	v_fma_f64 v[64:65], v[6:7], s[16:17], -v[64:65]
	v_fma_f64 v[66:67], v[28:29], s[16:17], -v[66:67]
	v_add_f64 v[68:69], v[68:69], v[32:33]
	v_add_f64 v[62:63], v[62:63], v[26:27]
	v_fma_f64 v[24:25], v[22:23], s[6:7], -v[58:59]
	v_add_f64 v[32:33], v[32:33], -v[60:61]
	v_add_f64 v[26:27], v[26:27], -v[36:37]
	v_mul_f64 v[4:5], v[4:5], s[22:23]
	v_mul_f64 v[10:11], v[10:11], s[22:23]
	;; [unrolled: 1-line block ×4, first 2 shown]
	v_fma_f64 v[38:39], v[38:39], s[6:7], -v[8:9]
	v_add_f64 v[60:61], v[64:65], v[30:31]
	v_add_f64 v[64:65], v[66:67], v[34:35]
	v_fma_f64 v[24:25], v[62:63], s[18:19], v[24:25]
	v_fma_f64 v[6:7], v[6:7], s[20:21], -v[4:5]
	v_fma_f64 v[28:29], v[28:29], s[20:21], -v[10:11]
	;; [unrolled: 1-line block ×4, first 2 shown]
	v_fma_f64 v[38:39], v[68:69], s[18:19], v[38:39]
	v_fma_f64 v[40:41], v[40:41], s[4:5], v[4:5]
	;; [unrolled: 1-line block ×5, first 2 shown]
	v_add_f64 v[4:5], v[60:61], -v[24:25]
	v_add_f64 v[66:67], v[6:7], v[30:31]
	v_add_f64 v[28:29], v[28:29], v[34:35]
	v_fma_f64 v[70:71], v[62:63], s[18:19], v[22:23]
	v_fma_f64 v[36:37], v[68:69], s[18:19], v[36:37]
	v_add_f64 v[6:7], v[38:39], v[64:65]
	v_add_f64 v[8:9], v[24:25], v[60:61]
	v_add_f64 v[10:11], v[64:65], -v[38:39]
	v_add_f64 v[38:39], v[40:41], v[30:31]
	v_add_f64 v[40:41], v[56:57], v[34:35]
	v_fma_f64 v[34:35], v[62:63], s[18:19], v[26:27]
	v_fma_f64 v[56:57], v[68:69], s[18:19], v[32:33]
	v_add_f64 v[58:59], v[18:19], v[54:55]
	v_add_f64 v[60:61], v[74:75], v[50:51]
	;; [unrolled: 1-line block ×5, first 2 shown]
	v_add_f64 v[24:25], v[28:29], -v[36:37]
	v_add_f64 v[26:27], v[66:67], -v[70:71]
	v_add_f64 v[28:29], v[36:37], v[28:29]
	v_add_f64 v[30:31], v[34:35], v[38:39]
	v_add_f64 v[32:33], v[40:41], -v[56:57]
	v_add_f64 v[34:35], v[38:39], -v[34:35]
	v_add_f64 v[36:37], v[56:57], v[40:41]
	v_add_f64 v[56:57], v[78:79], v[46:47]
	;; [unrolled: 1-line block ×5, first 2 shown]
	v_add_f64 v[48:49], v[76:77], -v[48:49]
	v_add_f64 v[50:51], v[74:75], -v[50:51]
	;; [unrolled: 1-line block ×5, first 2 shown]
	v_add_f64 v[68:69], v[56:57], v[38:39]
	v_add_f64 v[20:21], v[20:21], -v[52:53]
	v_add_f64 v[70:71], v[66:67], v[40:41]
	v_add_f64 v[52:53], v[56:57], -v[60:61]
	v_add_f64 v[54:55], v[60:61], -v[58:59]
	;; [unrolled: 1-line block ×8, first 2 shown]
	v_add_f64 v[72:73], v[46:47], v[50:51]
	v_add_f64 v[76:77], v[43:44], v[48:49]
	v_mul_f64 v[58:59], v[52:53], s[4:5]
	v_add_f64 v[50:51], v[50:51], -v[18:19]
	v_add_f64 v[45:46], v[18:19], -v[46:47]
	;; [unrolled: 1-line block ×3, first 2 shown]
	v_mul_f64 v[74:75], v[74:75], s[8:9]
	v_mul_f64 v[56:57], v[56:57], s[22:23]
	;; [unrolled: 1-line block ×3, first 2 shown]
	ds_read_b128 v[38:41], v15 offset:1568
	v_add_f64 v[72:73], v[72:73], v[18:19]
	v_mul_f64 v[18:19], v[64:65], s[4:5]
	v_fma_f64 v[58:59], v[54:55], s[16:17], -v[58:59]
	v_add_f64 v[76:77], v[76:77], v[20:21]
	s_waitcnt lgkmcnt(0)
	v_add_f64 v[38:39], v[38:39], v[68:69]
	v_add_f64 v[40:41], v[40:41], v[70:71]
	v_add_f64 v[20:21], v[20:21], -v[43:44]
	v_fma_f64 v[43:44], v[47:48], s[6:7], -v[74:75]
	v_fma_f64 v[54:55], v[54:55], s[20:21], -v[56:57]
	v_fma_f64 v[52:53], v[52:53], s[4:5], v[56:57]
	v_fma_f64 v[56:57], v[50:51], s[6:7], -v[66:67]
	v_mul_f64 v[62:63], v[62:63], s[22:23]
	v_mul_f64 v[47:48], v[47:48], s[6:7]
	;; [unrolled: 1-line block ×3, first 2 shown]
	v_fma_f64 v[68:69], v[68:69], s[14:15], v[38:39]
	v_fma_f64 v[70:71], v[70:71], s[14:15], v[40:41]
	v_fma_f64 v[18:19], v[60:61], s[16:17], -v[18:19]
	v_fma_f64 v[43:44], v[76:77], s[18:19], v[43:44]
	v_fma_f64 v[56:57], v[72:73], s[18:19], v[56:57]
	v_fma_f64 v[60:61], v[60:61], s[20:21], -v[62:63]
	v_fma_f64 v[47:48], v[20:21], s[26:27], -v[47:48]
	v_fma_f64 v[49:50], v[45:46], s[26:27], -v[49:50]
	v_fma_f64 v[62:63], v[64:65], s[4:5], v[62:63]
	v_fma_f64 v[64:65], v[20:21], s[24:25], v[74:75]
	;; [unrolled: 1-line block ×3, first 2 shown]
	v_add_f64 v[58:59], v[58:59], v[68:69]
	v_add_f64 v[78:79], v[18:19], v[70:71]
	;; [unrolled: 1-line block ×4, first 2 shown]
	v_fma_f64 v[66:67], v[76:77], s[18:19], v[47:48]
	v_fma_f64 v[74:75], v[72:73], s[18:19], v[49:50]
	v_add_f64 v[68:69], v[52:53], v[68:69]
	v_add_f64 v[62:63], v[62:63], v[70:71]
	v_fma_f64 v[64:65], v[76:77], s[18:19], v[64:65]
	v_fma_f64 v[70:71], v[72:73], s[18:19], v[45:46]
	v_add_f64 v[18:19], v[58:59], -v[43:44]
	v_add_f64 v[20:21], v[56:57], v[78:79]
	v_add_f64 v[43:44], v[43:44], v[58:59]
	v_add_f64 v[45:46], v[78:79], -v[56:57]
	v_add_f64 v[47:48], v[66:67], v[54:55]
	v_add_f64 v[49:50], v[60:61], -v[74:75]
	v_add_f64 v[51:52], v[54:55], -v[66:67]
	v_add_f64 v[53:54], v[74:75], v[60:61]
	v_add_f64 v[55:56], v[64:65], v[68:69]
	v_add_f64 v[57:58], v[62:63], -v[70:71]
	v_add_f64 v[59:60], v[68:69], -v[64:65]
	v_add_f64 v[61:62], v[70:71], v[62:63]
	s_barrier
	ds_write_b128 v15, v[0:3]
	ds_write_b128 v15, v[30:33] offset:3136
	ds_write_b128 v15, v[22:25] offset:6272
	;; [unrolled: 1-line block ×13, first 2 shown]
	s_waitcnt lgkmcnt(0)
	s_barrier
	s_and_saveexec_b64 s[4:5], s[0:1]
	s_cbranch_execz .LBB0_21
; %bb.20:
	v_mul_lo_u32 v0, s3, v16
	v_mul_lo_u32 v1, s2, v17
	v_mad_u64_u32 v[4:5], s[0:1], s2, v16, 0
	v_mov_b32_e32 v6, s11
	v_lshl_add_u32 v10, v14, 4, v42
	v_add3_u32 v5, v5, v1, v0
	v_lshlrev_b64 v[4:5], 4, v[4:5]
	v_mov_b32_e32 v15, 0
	v_add_co_u32_e32 v7, vcc, s10, v4
	v_addc_co_u32_e32 v6, vcc, v6, v5, vcc
	v_lshlrev_b64 v[4:5], 4, v[12:13]
	ds_read_b128 v[0:3], v10
	v_add_co_u32_e32 v11, vcc, v7, v4
	v_addc_co_u32_e32 v12, vcc, v6, v5, vcc
	v_lshlrev_b64 v[4:5], 4, v[14:15]
	v_add_co_u32_e32 v8, vcc, v11, v4
	v_addc_co_u32_e32 v9, vcc, v12, v5, vcc
	ds_read_b128 v[4:7], v10 offset:1568
	s_waitcnt lgkmcnt(1)
	global_store_dwordx4 v[8:9], v[0:3], off
	s_nop 0
	v_add_u32_e32 v0, 0x62, v14
	v_mov_b32_e32 v1, v15
	v_lshlrev_b64 v[0:1], 4, v[0:1]
	v_add_co_u32_e32 v0, vcc, v11, v0
	v_addc_co_u32_e32 v1, vcc, v12, v1, vcc
	s_waitcnt lgkmcnt(0)
	global_store_dwordx4 v[0:1], v[4:7], off
	ds_read_b128 v[0:3], v10 offset:3136
	v_add_u32_e32 v4, 0xc4, v14
	v_mov_b32_e32 v5, v15
	v_lshlrev_b64 v[4:5], 4, v[4:5]
	v_add_co_u32_e32 v8, vcc, v11, v4
	v_addc_co_u32_e32 v9, vcc, v12, v5, vcc
	ds_read_b128 v[4:7], v10 offset:4704
	s_waitcnt lgkmcnt(1)
	global_store_dwordx4 v[8:9], v[0:3], off
	s_nop 0
	v_add_u32_e32 v0, 0x126, v14
	v_mov_b32_e32 v1, v15
	v_lshlrev_b64 v[0:1], 4, v[0:1]
	v_add_co_u32_e32 v0, vcc, v11, v0
	v_addc_co_u32_e32 v1, vcc, v12, v1, vcc
	s_waitcnt lgkmcnt(0)
	global_store_dwordx4 v[0:1], v[4:7], off
	ds_read_b128 v[0:3], v10 offset:6272
	v_add_u32_e32 v4, 0x188, v14
	v_mov_b32_e32 v5, v15
	;; [unrolled: 17-line block ×6, first 2 shown]
	v_lshlrev_b64 v[4:5], 4, v[4:5]
	v_add_u32_e32 v14, 0x4fa, v14
	v_add_co_u32_e32 v8, vcc, v11, v4
	v_addc_co_u32_e32 v9, vcc, v12, v5, vcc
	ds_read_b128 v[4:7], v10 offset:20384
	s_waitcnt lgkmcnt(1)
	global_store_dwordx4 v[8:9], v[0:3], off
	s_nop 0
	v_lshlrev_b64 v[0:1], 4, v[14:15]
	v_add_co_u32_e32 v0, vcc, v11, v0
	v_addc_co_u32_e32 v1, vcc, v12, v1, vcc
	s_waitcnt lgkmcnt(0)
	global_store_dwordx4 v[0:1], v[4:7], off
.LBB0_21:
	s_endpgm
	.section	.rodata,"a",@progbits
	.p2align	6, 0x0
	.amdhsa_kernel fft_rtc_fwd_len1372_factors_2_2_7_7_7_wgs_196_tpt_98_halfLds_dp_op_CI_CI_unitstride_sbrr_C2R_dirReg
		.amdhsa_group_segment_fixed_size 0
		.amdhsa_private_segment_fixed_size 0
		.amdhsa_kernarg_size 104
		.amdhsa_user_sgpr_count 6
		.amdhsa_user_sgpr_private_segment_buffer 1
		.amdhsa_user_sgpr_dispatch_ptr 0
		.amdhsa_user_sgpr_queue_ptr 0
		.amdhsa_user_sgpr_kernarg_segment_ptr 1
		.amdhsa_user_sgpr_dispatch_id 0
		.amdhsa_user_sgpr_flat_scratch_init 0
		.amdhsa_user_sgpr_private_segment_size 0
		.amdhsa_uses_dynamic_stack 0
		.amdhsa_system_sgpr_private_segment_wavefront_offset 0
		.amdhsa_system_sgpr_workgroup_id_x 1
		.amdhsa_system_sgpr_workgroup_id_y 0
		.amdhsa_system_sgpr_workgroup_id_z 0
		.amdhsa_system_sgpr_workgroup_info 0
		.amdhsa_system_vgpr_workitem_id 0
		.amdhsa_next_free_vgpr 91
		.amdhsa_next_free_sgpr 29
		.amdhsa_reserve_vcc 1
		.amdhsa_reserve_flat_scratch 0
		.amdhsa_float_round_mode_32 0
		.amdhsa_float_round_mode_16_64 0
		.amdhsa_float_denorm_mode_32 3
		.amdhsa_float_denorm_mode_16_64 3
		.amdhsa_dx10_clamp 1
		.amdhsa_ieee_mode 1
		.amdhsa_fp16_overflow 0
		.amdhsa_exception_fp_ieee_invalid_op 0
		.amdhsa_exception_fp_denorm_src 0
		.amdhsa_exception_fp_ieee_div_zero 0
		.amdhsa_exception_fp_ieee_overflow 0
		.amdhsa_exception_fp_ieee_underflow 0
		.amdhsa_exception_fp_ieee_inexact 0
		.amdhsa_exception_int_div_zero 0
	.end_amdhsa_kernel
	.text
.Lfunc_end0:
	.size	fft_rtc_fwd_len1372_factors_2_2_7_7_7_wgs_196_tpt_98_halfLds_dp_op_CI_CI_unitstride_sbrr_C2R_dirReg, .Lfunc_end0-fft_rtc_fwd_len1372_factors_2_2_7_7_7_wgs_196_tpt_98_halfLds_dp_op_CI_CI_unitstride_sbrr_C2R_dirReg
                                        ; -- End function
	.section	.AMDGPU.csdata,"",@progbits
; Kernel info:
; codeLenInByte = 11852
; NumSgprs: 33
; NumVgprs: 91
; ScratchSize: 0
; MemoryBound: 0
; FloatMode: 240
; IeeeMode: 1
; LDSByteSize: 0 bytes/workgroup (compile time only)
; SGPRBlocks: 4
; VGPRBlocks: 22
; NumSGPRsForWavesPerEU: 33
; NumVGPRsForWavesPerEU: 91
; Occupancy: 2
; WaveLimiterHint : 1
; COMPUTE_PGM_RSRC2:SCRATCH_EN: 0
; COMPUTE_PGM_RSRC2:USER_SGPR: 6
; COMPUTE_PGM_RSRC2:TRAP_HANDLER: 0
; COMPUTE_PGM_RSRC2:TGID_X_EN: 1
; COMPUTE_PGM_RSRC2:TGID_Y_EN: 0
; COMPUTE_PGM_RSRC2:TGID_Z_EN: 0
; COMPUTE_PGM_RSRC2:TIDIG_COMP_CNT: 0
	.type	__hip_cuid_8de2f38b8ae55b0,@object ; @__hip_cuid_8de2f38b8ae55b0
	.section	.bss,"aw",@nobits
	.globl	__hip_cuid_8de2f38b8ae55b0
__hip_cuid_8de2f38b8ae55b0:
	.byte	0                               ; 0x0
	.size	__hip_cuid_8de2f38b8ae55b0, 1

	.ident	"AMD clang version 19.0.0git (https://github.com/RadeonOpenCompute/llvm-project roc-6.4.0 25133 c7fe45cf4b819c5991fe208aaa96edf142730f1d)"
	.section	".note.GNU-stack","",@progbits
	.addrsig
	.addrsig_sym __hip_cuid_8de2f38b8ae55b0
	.amdgpu_metadata
---
amdhsa.kernels:
  - .args:
      - .actual_access:  read_only
        .address_space:  global
        .offset:         0
        .size:           8
        .value_kind:     global_buffer
      - .offset:         8
        .size:           8
        .value_kind:     by_value
      - .actual_access:  read_only
        .address_space:  global
        .offset:         16
        .size:           8
        .value_kind:     global_buffer
      - .actual_access:  read_only
        .address_space:  global
        .offset:         24
        .size:           8
        .value_kind:     global_buffer
      - .actual_access:  read_only
        .address_space:  global
        .offset:         32
        .size:           8
        .value_kind:     global_buffer
      - .offset:         40
        .size:           8
        .value_kind:     by_value
      - .actual_access:  read_only
        .address_space:  global
        .offset:         48
        .size:           8
        .value_kind:     global_buffer
      - .actual_access:  read_only
        .address_space:  global
        .offset:         56
        .size:           8
        .value_kind:     global_buffer
      - .offset:         64
        .size:           4
        .value_kind:     by_value
      - .actual_access:  read_only
        .address_space:  global
        .offset:         72
        .size:           8
        .value_kind:     global_buffer
      - .actual_access:  read_only
        .address_space:  global
        .offset:         80
        .size:           8
        .value_kind:     global_buffer
      - .actual_access:  read_only
        .address_space:  global
        .offset:         88
        .size:           8
        .value_kind:     global_buffer
      - .actual_access:  write_only
        .address_space:  global
        .offset:         96
        .size:           8
        .value_kind:     global_buffer
    .group_segment_fixed_size: 0
    .kernarg_segment_align: 8
    .kernarg_segment_size: 104
    .language:       OpenCL C
    .language_version:
      - 2
      - 0
    .max_flat_workgroup_size: 196
    .name:           fft_rtc_fwd_len1372_factors_2_2_7_7_7_wgs_196_tpt_98_halfLds_dp_op_CI_CI_unitstride_sbrr_C2R_dirReg
    .private_segment_fixed_size: 0
    .sgpr_count:     33
    .sgpr_spill_count: 0
    .symbol:         fft_rtc_fwd_len1372_factors_2_2_7_7_7_wgs_196_tpt_98_halfLds_dp_op_CI_CI_unitstride_sbrr_C2R_dirReg.kd
    .uniform_work_group_size: 1
    .uses_dynamic_stack: false
    .vgpr_count:     91
    .vgpr_spill_count: 0
    .wavefront_size: 64
amdhsa.target:   amdgcn-amd-amdhsa--gfx906
amdhsa.version:
  - 1
  - 2
...

	.end_amdgpu_metadata
